;; amdgpu-corpus repo=ROCm/rocFFT kind=compiled arch=gfx950 opt=O3
	.text
	.amdgcn_target "amdgcn-amd-amdhsa--gfx950"
	.amdhsa_code_object_version 6
	.protected	fft_rtc_back_len256_factors_4_4_4_4_wgs_256_tpt_32_half_op_CI_CI_sbrc_xy_z_aligned ; -- Begin function fft_rtc_back_len256_factors_4_4_4_4_wgs_256_tpt_32_half_op_CI_CI_sbrc_xy_z_aligned
	.globl	fft_rtc_back_len256_factors_4_4_4_4_wgs_256_tpt_32_half_op_CI_CI_sbrc_xy_z_aligned
	.p2align	8
	.type	fft_rtc_back_len256_factors_4_4_4_4_wgs_256_tpt_32_half_op_CI_CI_sbrc_xy_z_aligned,@function
fft_rtc_back_len256_factors_4_4_4_4_wgs_256_tpt_32_half_op_CI_CI_sbrc_xy_z_aligned: ; @fft_rtc_back_len256_factors_4_4_4_4_wgs_256_tpt_32_half_op_CI_CI_sbrc_xy_z_aligned
; %bb.0:
	s_load_dwordx4 s[12:15], s[0:1], 0x10
	s_mov_b32 s3, 0
	s_mov_b32 s31, s3
	s_mov_b64 s[28:29], 0
	s_waitcnt lgkmcnt(0)
	s_load_dwordx4 s[20:23], s[12:13], 0x8
	s_load_dwordx2 s[24:25], s[0:1], 0x0
	s_load_dwordx4 s[8:11], s[0:1], 0x58
	s_load_dwordx2 s[26:27], s[0:1], 0x20
	s_waitcnt lgkmcnt(0)
	s_add_i32 s4, s22, -1
	s_lshr_b32 s4, s4, 3
	s_add_i32 s4, s4, 1
	s_mul_i32 s30, s4, s20
	v_cvt_f32_u32_e32 v1, s30
	s_load_dwordx4 s[16:19], s[14:15], 0x0
	s_load_dwordx2 s[22:23], s[14:15], 0x10
	s_load_dwordx4 s[4:7], s[26:27], 0x0
	s_load_dwordx2 s[12:13], s[26:27], 0x10
	s_waitcnt lgkmcnt(0)
	s_sub_i32 s7, 0, s30
	v_rcp_iflag_f32_e32 v1, v1
	v_mov_b64_e32 v[2:3], s[20:21]
	v_mul_f32_e32 v1, 0x4f7ffffe, v1
	v_cvt_u32_f32_e32 v1, v1
	s_nop 0
	v_readfirstlane_b32 s13, v1
	s_mul_i32 s7, s7, s13
	s_mul_hi_u32 s7, s13, s7
	s_add_i32 s13, s13, s7
	s_mul_hi_u32 s7, s2, s13
	s_mul_i32 s13, s7, s30
	s_sub_i32 s13, s2, s13
	s_add_i32 s19, s7, 1
	s_sub_i32 s23, s13, s30
	s_cmp_ge_u32 s13, s30
	s_cselect_b32 s7, s19, s7
	s_cselect_b32 s13, s23, s13
	s_add_i32 s19, s7, 1
	s_cmp_ge_u32 s13, s30
	s_cselect_b32 s7, s19, s7
	s_mul_i32 s13, s7, s30
	v_cvt_f32_u32_e32 v1, s20
	s_sub_i32 s30, s2, s13
	v_cmp_lt_u64_e32 vcc, s[30:31], v[2:3]
	s_cbranch_vccnz .LBB0_2
; %bb.1:
	v_rcp_iflag_f32_e32 v2, v1
	s_sub_i32 s13, 0, s20
	v_mul_f32_e32 v2, 0x4f7ffffe, v2
	v_cvt_u32_f32_e32 v2, v2
	s_nop 0
	v_readfirstlane_b32 s19, v2
	s_mul_i32 s13, s13, s19
	s_mul_hi_u32 s13, s19, s13
	s_add_i32 s19, s19, s13
	s_mul_hi_u32 s13, s30, s19
	s_mul_i32 s23, s13, s20
	s_sub_i32 s23, s30, s23
	s_add_i32 s19, s13, 1
	s_sub_i32 s28, s23, s20
	s_cmp_ge_u32 s23, s20
	s_cselect_b32 s13, s19, s13
	s_cselect_b32 s23, s28, s23
	s_add_i32 s19, s13, 1
	s_cmp_ge_u32 s23, s20
	s_cselect_b32 s28, s19, s13
.LBB0_2:
	v_mov_b64_e32 v[2:3], s[20:21]
	v_cmp_lt_u64_e32 vcc, s[2:3], v[2:3]
	s_cbranch_vccnz .LBB0_4
; %bb.3:
	v_rcp_iflag_f32_e32 v1, v1
	s_sub_i32 s3, 0, s20
	v_mul_f32_e32 v1, 0x4f7ffffe, v1
	v_cvt_u32_f32_e32 v1, v1
	s_nop 0
	v_readfirstlane_b32 s13, v1
	s_mul_i32 s3, s3, s13
	s_mul_hi_u32 s3, s13, s3
	s_add_i32 s13, s13, s3
	s_mul_hi_u32 s3, s2, s13
	s_mul_i32 s3, s3, s20
	s_sub_i32 s2, s2, s3
	s_sub_i32 s3, s2, s20
	s_cmp_ge_u32 s2, s20
	s_cselect_b32 s2, s3, s2
	s_sub_i32 s3, s2, s20
	s_cmp_ge_u32 s2, s20
	s_cselect_b32 s2, s3, s2
.LBB0_4:
	s_load_dwordx2 s[20:21], s[0:1], 0x8
	s_lshl_b32 s0, s28, 3
	s_mul_i32 s1, s2, s18
	s_mul_i32 s3, s0, s22
	s_add_i32 s18, s1, s3
	s_mul_i32 s1, s5, s0
	s_mul_hi_u32 s3, s4, s0
	s_add_i32 s1, s3, s1
	s_waitcnt lgkmcnt(0)
	s_lshl_b64 s[20:21], s[20:21], 3
	s_add_u32 s14, s14, s20
	s_addc_u32 s15, s15, s21
	s_load_dwordx2 s[28:29], s[14:15], 0x0
	s_mov_b32 s19, 0
	s_mov_b32 s23, s19
	v_lshlrev_b32_e32 v1, 5, v0
	v_and_b32_e32 v1, 0x1c00, v1
	s_waitcnt lgkmcnt(0)
	s_mul_i32 s3, s29, s7
	s_mul_hi_u32 s13, s28, s7
	s_add_i32 s29, s13, s3
	s_add_u32 s14, s26, s20
	s_addc_u32 s15, s27, s21
	s_load_dwordx2 s[14:15], s[14:15], 0x0
	v_mad_u64_u32 v[2:3], s[20:21], s16, v0, 0
	v_mov_b32_e32 v4, v3
	s_mul_i32 s28, s28, s7
	s_waitcnt lgkmcnt(0)
	s_mul_i32 s3, s15, s7
	s_mul_hi_u32 s13, s14, s7
	v_mad_u64_u32 v[4:5], s[16:17], s17, v0, v[4:5]
	s_add_i32 s3, s13, s3
	s_lshl_b64 s[16:17], s[28:29], 2
	s_add_u32 s13, s8, s16
	s_addc_u32 s15, s9, s17
	s_lshl_b64 s[8:9], s[18:19], 2
	s_add_u32 s8, s13, s8
	v_mov_b32_e32 v3, v4
	s_addc_u32 s9, s15, s9
	v_lshl_add_u64 v[2:3], v[2:3], 2, s[8:9]
	s_add_i32 s18, s22, s22
	v_lshl_add_u64 v[6:7], s[18:19], 2, v[2:3]
	s_add_i32 s18, s18, s22
	;; [unrolled: 2-line block ×6, first 2 shown]
	v_lshl_add_u64 v[4:5], s[22:23], 2, v[2:3]
	v_lshl_add_u64 v[16:17], s[18:19], 2, v[2:3]
	global_load_dword v18, v[2:3], off
	global_load_dword v19, v[4:5], off
	;; [unrolled: 1-line block ×8, first 2 shown]
	v_and_b32_e32 v12, 31, v0
	v_and_b32_e32 v8, 3, v0
	v_lshlrev_b32_e32 v13, 2, v12
	v_lshl_add_u32 v2, v0, 2, 0
	v_mul_u32_u24_e32 v3, 3, v8
	v_add_u32_e32 v14, 0, v1
	v_add3_u32 v1, 0, v13, v1
	v_lshlrev_b32_e32 v10, 2, v3
	v_add_u32_e32 v15, v14, v13
	v_mad_u32_u24 v11, v12, 12, v1
	v_or_b32_e32 v9, 32, v12
	v_lshl_add_u32 v16, v9, 4, v14
	s_movk_i32 s8, 0x70
	s_movk_i32 s9, 0xf0
	s_mul_i32 s18, s2, s12
	s_mul_i32 s2, s14, s7
	s_waitcnt vmcnt(6)
	ds_write2st64_b32 v2, v18, v19 offset1:4
	s_waitcnt vmcnt(4)
	ds_write2st64_b32 v2, v20, v21 offset0:8 offset1:12
	s_waitcnt vmcnt(2)
	ds_write2st64_b32 v2, v22, v23 offset0:16 offset1:20
	;; [unrolled: 2-line block ×3, first 2 shown]
	s_waitcnt lgkmcnt(0)
	s_barrier
	ds_read2_b32 v[2:3], v1 offset0:32 offset1:64
	ds_read2_b32 v[4:5], v1 offset0:96 offset1:128
	;; [unrolled: 1-line block ×3, first 2 shown]
	ds_read_b32 v17, v15
	ds_read_b32 v18, v1 offset:896
	s_waitcnt lgkmcnt(0)
	s_barrier
	v_pk_add_f16 v7, v3, v7 neg_lo:[0,1] neg_hi:[0,1]
	v_pk_add_f16 v5, v17, v5 neg_lo:[0,1] neg_hi:[0,1]
	;; [unrolled: 1-line block ×4, first 2 shown]
	v_alignbit_b32 v19, s0, v7, 16
	v_alignbit_b32 v21, s0, v5, 16
	;; [unrolled: 1-line block ×4, first 2 shown]
	v_pk_fma_f16 v17, v17, 2.0, v5 op_sel_hi:[1,0,1] neg_lo:[0,0,1] neg_hi:[0,0,1]
	v_pk_fma_f16 v3, v3, 2.0, v7 op_sel_hi:[1,0,1] neg_lo:[0,0,1] neg_hi:[0,0,1]
	v_lshrrev_b32_e32 v20, 16, v5
	v_pk_fma_f16 v2, v2, 2.0, v6 op_sel_hi:[1,0,1] neg_lo:[0,0,1] neg_hi:[0,0,1]
	v_pk_fma_f16 v4, v4, 2.0, v18 op_sel_hi:[1,0,1] neg_lo:[0,0,1] neg_hi:[0,0,1]
	v_lshrrev_b32_e32 v23, 16, v6
	v_pk_add_f16 v19, v5, v19
	v_pk_add_f16 v7, v21, v7 neg_lo:[0,1] neg_hi:[0,1]
	v_pk_add_f16 v21, v6, v22
	v_pk_add_f16 v18, v24, v18 neg_lo:[0,1] neg_hi:[0,1]
	v_pk_add_f16 v3, v17, v3 neg_lo:[0,1] neg_hi:[0,1]
	;; [unrolled: 1-line block ×3, first 2 shown]
	v_fma_f16 v5, v5, 2.0, -v19
	v_fma_f16 v20, v20, 2.0, -v7
	;; [unrolled: 1-line block ×4, first 2 shown]
	v_pack_b32_f16 v7, v19, v7
	v_pk_fma_f16 v17, v17, 2.0, v3 op_sel_hi:[1,0,1] neg_lo:[0,0,1] neg_hi:[0,0,1]
	v_pk_fma_f16 v2, v2, 2.0, v4 op_sel_hi:[1,0,1] neg_lo:[0,0,1] neg_hi:[0,0,1]
	v_pack_b32_f16 v5, v5, v20
	ds_write2_b32 v11, v3, v7 offset0:2 offset1:3
	v_pack_b32_f16 v3, v6, v22
	v_pack_b32_f16 v18, v21, v18
	ds_write2_b32 v11, v17, v5 offset1:1
	ds_write2_b32 v16, v2, v3 offset1:1
	ds_write2_b32 v16, v4, v18 offset0:2 offset1:3
	s_waitcnt lgkmcnt(0)
	s_barrier
	global_load_dwordx3 v[2:4], v10, s[24:25]
	v_lshlrev_b32_e32 v5, 2, v9
	v_and_or_b32 v6, v13, s8, v8
	v_lshl_add_u32 v16, v6, 2, v14
	v_and_or_b32 v6, v5, s9, v8
	v_lshl_add_u32 v17, v6, 2, v14
	ds_read2_b32 v[6:7], v1 offset0:32 offset1:64
	ds_read2_b32 v[8:9], v1 offset0:96 offset1:128
	;; [unrolled: 1-line block ×3, first 2 shown]
	ds_read_b32 v18, v15
	ds_read_b32 v19, v1 offset:896
	s_waitcnt lgkmcnt(4)
	v_lshrrev_b32_e32 v20, 16, v7
	s_waitcnt lgkmcnt(3)
	v_lshrrev_b32_e32 v21, 16, v9
	;; [unrolled: 2-line block ×3, first 2 shown]
	v_lshrrev_b32_e32 v23, 16, v8
	v_lshrrev_b32_e32 v24, 16, v10
	s_waitcnt lgkmcnt(0)
	v_lshrrev_b32_e32 v25, 16, v19
	v_lshrrev_b32_e32 v26, 16, v18
	;; [unrolled: 1-line block ×3, first 2 shown]
	s_barrier
	s_movk_i32 s8, 0xc0
	s_mul_i32 s0, s4, s0
	s_lshl_b64 s[0:1], s[0:1], 2
	s_waitcnt vmcnt(0)
	v_mul_f16_sdwa v28, v2, v20 dst_sel:DWORD dst_unused:UNUSED_PAD src0_sel:WORD_1 src1_sel:DWORD
	v_mul_f16_sdwa v29, v2, v7 dst_sel:DWORD dst_unused:UNUSED_PAD src0_sel:WORD_1 src1_sel:DWORD
	;; [unrolled: 1-line block ×12, first 2 shown]
	v_fma_f16 v7, v2, v7, v28
	v_fma_f16 v20, v2, v20, -v29
	v_fma_f16 v9, v3, v9, v30
	v_fma_f16 v21, v3, v21, -v31
	v_fma_f16 v11, v4, v11, v32
	v_fma_f16 v22, v4, v22, -v33
	v_fma_f16 v8, v2, v8, v34
	v_fma_f16 v2, v2, v23, -v35
	v_fma_f16 v10, v3, v10, v36
	v_fma_f16 v3, v3, v24, -v37
	v_fma_f16 v19, v4, v19, v38
	v_fma_f16 v4, v4, v25, -v39
	v_sub_f16_e32 v9, v18, v9
	v_sub_f16_e32 v21, v26, v21
	;; [unrolled: 1-line block ×8, first 2 shown]
	v_fma_f16 v18, v18, 2.0, -v9
	v_fma_f16 v23, v26, 2.0, -v21
	;; [unrolled: 1-line block ×4, first 2 shown]
	v_add_f16_e32 v22, v9, v22
	v_sub_f16_e32 v11, v21, v11
	v_fma_f16 v6, v6, 2.0, -v10
	v_fma_f16 v24, v27, 2.0, -v3
	v_fma_f16 v8, v8, 2.0, -v19
	v_fma_f16 v2, v2, 2.0, -v4
	v_add_f16_e32 v4, v10, v4
	v_sub_f16_e32 v19, v3, v19
	v_sub_f16_e32 v7, v18, v7
	;; [unrolled: 1-line block ×3, first 2 shown]
	v_fma_f16 v9, v9, 2.0, -v22
	v_fma_f16 v21, v21, 2.0, -v11
	v_sub_f16_e32 v8, v6, v8
	v_sub_f16_e32 v2, v24, v2
	v_fma_f16 v10, v10, 2.0, -v4
	v_fma_f16 v3, v3, 2.0, -v19
	v_pack_b32_f16 v11, v22, v11
	v_fma_f16 v18, v18, 2.0, -v7
	v_fma_f16 v22, v23, 2.0, -v20
	;; [unrolled: 1-line block ×4, first 2 shown]
	v_pack_b32_f16 v9, v9, v21
	v_pack_b32_f16 v7, v7, v20
	;; [unrolled: 1-line block ×4, first 2 shown]
	ds_write2_b32 v16, v7, v11 offset0:8 offset1:12
	v_pack_b32_f16 v6, v6, v23
	ds_write2_b32 v16, v10, v9 offset1:4
	ds_write2_b32 v17, v6, v3 offset1:4
	v_pack_b32_f16 v2, v8, v2
	v_pack_b32_f16 v3, v4, v19
	v_and_b32_e32 v16, 15, v0
	ds_write2_b32 v17, v2, v3 offset0:8 offset1:12
	v_mul_u32_u24_e32 v2, 3, v16
	v_lshlrev_b32_e32 v2, 2, v2
	s_waitcnt lgkmcnt(0)
	s_barrier
	global_load_dwordx3 v[2:4], v2, s[24:25] offset:48
	v_and_or_b32 v6, v13, 64, v16
	v_lshl_add_u32 v13, v6, 2, v14
	ds_read2_b32 v[6:7], v1 offset0:32 offset1:64
	ds_read2_b32 v[8:9], v1 offset0:96 offset1:128
	;; [unrolled: 1-line block ×3, first 2 shown]
	ds_read_b32 v17, v15
	ds_read_b32 v18, v1 offset:896
	s_waitcnt lgkmcnt(4)
	v_lshrrev_b32_e32 v19, 16, v7
	s_waitcnt lgkmcnt(3)
	v_lshrrev_b32_e32 v20, 16, v9
	;; [unrolled: 2-line block ×3, first 2 shown]
	v_lshrrev_b32_e32 v22, 16, v8
	v_lshrrev_b32_e32 v23, 16, v10
	s_waitcnt lgkmcnt(0)
	v_lshrrev_b32_e32 v24, 16, v18
	v_lshrrev_b32_e32 v26, 16, v6
	;; [unrolled: 1-line block ×3, first 2 shown]
	v_and_or_b32 v5, v5, s8, v16
	v_lshl_add_u32 v5, v5, 2, v14
	s_barrier
	s_waitcnt vmcnt(0)
	v_mul_f16_sdwa v27, v2, v19 dst_sel:DWORD dst_unused:UNUSED_PAD src0_sel:WORD_1 src1_sel:DWORD
	v_mul_f16_sdwa v28, v2, v7 dst_sel:DWORD dst_unused:UNUSED_PAD src0_sel:WORD_1 src1_sel:DWORD
	;; [unrolled: 1-line block ×12, first 2 shown]
	v_fma_f16 v7, v2, v7, v27
	v_fma_f16 v19, v2, v19, -v28
	v_fma_f16 v9, v3, v9, v29
	v_fma_f16 v20, v3, v20, -v30
	;; [unrolled: 2-line block ×6, first 2 shown]
	v_sub_f16_e32 v10, v6, v10
	v_sub_f16_e32 v3, v26, v3
	v_sub_f16_e32 v18, v8, v18
	v_sub_f16_e32 v4, v2, v4
	v_fma_f16 v6, v6, 2.0, -v10
	v_fma_f16 v23, v26, 2.0, -v3
	;; [unrolled: 1-line block ×4, first 2 shown]
	v_sub_f16_e32 v9, v17, v9
	v_sub_f16_e32 v20, v25, v20
	;; [unrolled: 1-line block ×4, first 2 shown]
	v_add_f16_e32 v4, v10, v4
	v_sub_f16_e32 v18, v3, v18
	v_sub_f16_e32 v8, v6, v8
	;; [unrolled: 1-line block ×3, first 2 shown]
	v_fma_f16 v17, v17, 2.0, -v9
	v_fma_f16 v22, v25, 2.0, -v20
	;; [unrolled: 1-line block ×8, first 2 shown]
	v_add_f16_e32 v21, v9, v21
	v_sub_f16_e32 v11, v20, v11
	v_sub_f16_e32 v7, v17, v7
	v_sub_f16_e32 v19, v22, v19
	v_pack_b32_f16 v6, v6, v23
	v_pack_b32_f16 v3, v10, v3
	v_fma_f16 v9, v9, 2.0, -v21
	v_fma_f16 v20, v20, 2.0, -v11
	v_fma_f16 v17, v17, 2.0, -v7
	v_fma_f16 v22, v22, 2.0, -v19
	ds_write2_b32 v5, v6, v3 offset1:16
	v_pack_b32_f16 v2, v8, v2
	v_pack_b32_f16 v3, v4, v18
	;; [unrolled: 1-line block ×4, first 2 shown]
	ds_write2_b32 v5, v2, v3 offset0:32 offset1:48
	v_mul_u32_u24_e32 v2, 3, v12
	ds_write2_b32 v13, v17, v9 offset1:16
	v_pack_b32_f16 v7, v7, v19
	v_pack_b32_f16 v9, v21, v11
	v_lshlrev_b32_e32 v5, 2, v2
	ds_write2_b32 v13, v7, v9 offset0:32 offset1:48
	s_waitcnt lgkmcnt(0)
	s_barrier
	global_load_dwordx3 v[2:4], v5, s[24:25] offset:240
	global_load_dwordx3 v[6:8], v5, s[24:25] offset:624
	ds_read_b32 v9, v15
	ds_read2_b32 v[10:11], v1 offset0:32 offset1:64
	ds_read2_b32 v[12:13], v1 offset0:96 offset1:128
	ds_read2_b32 v[14:15], v1 offset0:160 offset1:192
	ds_read_u16 v16, v1 offset:898
	ds_read_b32 v17, v1 offset:896
	s_waitcnt lgkmcnt(4)
	v_lshrrev_b32_e32 v18, 16, v11
	s_waitcnt lgkmcnt(3)
	v_lshrrev_b32_e32 v19, 16, v13
	;; [unrolled: 2-line block ×3, first 2 shown]
	v_lshrrev_b32_e32 v21, 16, v12
	v_lshrrev_b32_e32 v22, 16, v14
	;; [unrolled: 1-line block ×4, first 2 shown]
	s_waitcnt lgkmcnt(0)
	s_barrier
	v_mov_b32_e32 v5, 0
	s_waitcnt vmcnt(1)
	v_mul_f16_sdwa v25, v2, v18 dst_sel:DWORD dst_unused:UNUSED_PAD src0_sel:WORD_1 src1_sel:DWORD
	v_mul_f16_sdwa v26, v2, v11 dst_sel:DWORD dst_unused:UNUSED_PAD src0_sel:WORD_1 src1_sel:DWORD
	;; [unrolled: 1-line block ×6, first 2 shown]
	s_waitcnt vmcnt(0)
	v_mul_f16_sdwa v31, v6, v21 dst_sel:DWORD dst_unused:UNUSED_PAD src0_sel:WORD_1 src1_sel:DWORD
	v_mul_f16_sdwa v32, v6, v12 dst_sel:DWORD dst_unused:UNUSED_PAD src0_sel:WORD_1 src1_sel:DWORD
	;; [unrolled: 1-line block ×4, first 2 shown]
	v_mul_f16_sdwa v35, v16, v8 dst_sel:DWORD dst_unused:UNUSED_PAD src0_sel:DWORD src1_sel:WORD_1
	v_mul_f16_sdwa v36, v8, v17 dst_sel:DWORD dst_unused:UNUSED_PAD src0_sel:WORD_1 src1_sel:DWORD
	v_fma_f16 v11, v2, v11, v25
	v_fma_f16 v2, v2, v18, -v26
	v_fma_f16 v13, v3, v13, v27
	v_fma_f16 v3, v3, v19, -v28
	;; [unrolled: 2-line block ×6, first 2 shown]
	v_sub_f16_e32 v13, v9, v13
	v_sub_f16_e32 v3, v23, v3
	;; [unrolled: 1-line block ×8, first 2 shown]
	v_fma_f16 v11, v11, 2.0, -v15
	v_fma_f16 v2, v2, 2.0, -v4
	v_add_f16_e32 v4, v13, v4
	v_sub_f16_e32 v15, v3, v15
	v_fma_f16 v12, v12, 2.0, -v16
	v_fma_f16 v6, v6, 2.0, -v8
	v_add_f16_e32 v8, v14, v8
	v_sub_f16_e32 v16, v7, v16
	v_fma_f16 v9, v9, 2.0, -v13
	v_fma_f16 v17, v23, 2.0, -v3
	;; [unrolled: 1-line block ×8, first 2 shown]
	v_sub_f16_e32 v11, v9, v11
	v_sub_f16_e32 v2, v17, v2
	;; [unrolled: 1-line block ×4, first 2 shown]
	v_pack_b32_f16 v3, v13, v3
	v_pack_b32_f16 v7, v14, v7
	v_fma_f16 v9, v9, 2.0, -v11
	v_fma_f16 v17, v17, 2.0, -v2
	;; [unrolled: 1-line block ×4, first 2 shown]
	v_pack_b32_f16 v2, v11, v2
	ds_write2_b32 v1, v3, v7 offset0:64 offset1:96
	v_pack_b32_f16 v3, v12, v6
	v_pack_b32_f16 v9, v9, v17
	;; [unrolled: 1-line block ×4, first 2 shown]
	ds_write2_b32 v1, v2, v3 offset0:128 offset1:160
	v_pack_b32_f16 v2, v8, v16
	v_and_b32_e32 v7, 7, v0
	ds_write2_b32 v1, v9, v10 offset1:32
	ds_write2_b32 v1, v4, v2 offset0:192 offset1:224
	v_lshrrev_b32_e32 v6, 3, v0
	v_mad_u64_u32 v[0:1], s[8:9], s4, v7, 0
	v_mov_b32_e32 v2, v1
	v_mad_u64_u32 v[2:3], s[4:5], s5, v7, v[2:3]
	v_lshlrev_b32_e32 v10, 10, v7
	v_lshlrev_b32_e32 v11, 2, v6
	s_add_u32 s4, s10, s0
	v_mov_b32_e32 v1, v2
	v_or_b32_e32 v2, v10, v11
	s_addc_u32 s5, s11, s1
	s_lshl_b64 s[0:1], s[18:19], 2
	v_add_u32_e32 v12, 0, v2
	s_add_u32 s4, s4, s0
	s_waitcnt lgkmcnt(0)
	s_barrier
	ds_read2_b32 v[2:3], v12 offset1:32
	s_addc_u32 s5, s5, s1
	s_lshl_b64 s[0:1], s[2:3], 2
	s_add_u32 s0, s4, s0
	s_addc_u32 s1, s5, s1
	v_mul_lo_u32 v4, v6, s6
	v_lshl_add_u64 v[0:1], v[0:1], 2, s[0:1]
	v_lshl_add_u64 v[6:7], v[4:5], 2, v[0:1]
	s_waitcnt lgkmcnt(0)
	global_store_dword v[6:7], v2, off
	ds_read2_b32 v[6:7], v12 offset0:64 offset1:96
	s_lshl_b32 s0, s6, 5
	v_add_u32_e32 v4, s0, v4
	v_lshl_add_u64 v[8:9], v[4:5], 2, v[0:1]
	v_add_u32_e32 v4, s0, v4
	global_store_dword v[8:9], v3, off
	v_lshl_add_u64 v[2:3], v[4:5], 2, v[0:1]
	v_add_u32_e32 v4, s0, v4
	s_waitcnt lgkmcnt(0)
	global_store_dword v[2:3], v6, off
	v_lshl_add_u64 v[2:3], v[4:5], 2, v[0:1]
	ds_read_b32 v8, v12 offset:512
	global_store_dword v[2:3], v7, off
	v_add3_u32 v9, 0, v10, v11
	ds_read2_b32 v[6:7], v9 offset0:160 offset1:192
	ds_read_b32 v9, v9 offset:896
	v_add_u32_e32 v4, s0, v4
	v_lshl_add_u64 v[2:3], v[4:5], 2, v[0:1]
	v_add_u32_e32 v4, s0, v4
	s_waitcnt lgkmcnt(2)
	global_store_dword v[2:3], v8, off
	v_lshl_add_u64 v[2:3], v[4:5], 2, v[0:1]
	v_add_u32_e32 v4, s0, v4
	s_waitcnt lgkmcnt(1)
	global_store_dword v[2:3], v6, off
	v_lshl_add_u64 v[2:3], v[4:5], 2, v[0:1]
	v_add_u32_e32 v4, s0, v4
	v_lshl_add_u64 v[0:1], v[4:5], 2, v[0:1]
	global_store_dword v[2:3], v7, off
	s_waitcnt lgkmcnt(0)
	global_store_dword v[0:1], v9, off
	s_endpgm
	.section	.rodata,"a",@progbits
	.p2align	6, 0x0
	.amdhsa_kernel fft_rtc_back_len256_factors_4_4_4_4_wgs_256_tpt_32_half_op_CI_CI_sbrc_xy_z_aligned
		.amdhsa_group_segment_fixed_size 0
		.amdhsa_private_segment_fixed_size 0
		.amdhsa_kernarg_size 104
		.amdhsa_user_sgpr_count 2
		.amdhsa_user_sgpr_dispatch_ptr 0
		.amdhsa_user_sgpr_queue_ptr 0
		.amdhsa_user_sgpr_kernarg_segment_ptr 1
		.amdhsa_user_sgpr_dispatch_id 0
		.amdhsa_user_sgpr_kernarg_preload_length 0
		.amdhsa_user_sgpr_kernarg_preload_offset 0
		.amdhsa_user_sgpr_private_segment_size 0
		.amdhsa_uses_dynamic_stack 0
		.amdhsa_enable_private_segment 0
		.amdhsa_system_sgpr_workgroup_id_x 1
		.amdhsa_system_sgpr_workgroup_id_y 0
		.amdhsa_system_sgpr_workgroup_id_z 0
		.amdhsa_system_sgpr_workgroup_info 0
		.amdhsa_system_vgpr_workitem_id 0
		.amdhsa_next_free_vgpr 40
		.amdhsa_next_free_sgpr 32
		.amdhsa_accum_offset 40
		.amdhsa_reserve_vcc 1
		.amdhsa_float_round_mode_32 0
		.amdhsa_float_round_mode_16_64 0
		.amdhsa_float_denorm_mode_32 3
		.amdhsa_float_denorm_mode_16_64 3
		.amdhsa_dx10_clamp 1
		.amdhsa_ieee_mode 1
		.amdhsa_fp16_overflow 0
		.amdhsa_tg_split 0
		.amdhsa_exception_fp_ieee_invalid_op 0
		.amdhsa_exception_fp_denorm_src 0
		.amdhsa_exception_fp_ieee_div_zero 0
		.amdhsa_exception_fp_ieee_overflow 0
		.amdhsa_exception_fp_ieee_underflow 0
		.amdhsa_exception_fp_ieee_inexact 0
		.amdhsa_exception_int_div_zero 0
	.end_amdhsa_kernel
	.text
.Lfunc_end0:
	.size	fft_rtc_back_len256_factors_4_4_4_4_wgs_256_tpt_32_half_op_CI_CI_sbrc_xy_z_aligned, .Lfunc_end0-fft_rtc_back_len256_factors_4_4_4_4_wgs_256_tpt_32_half_op_CI_CI_sbrc_xy_z_aligned
                                        ; -- End function
	.section	.AMDGPU.csdata,"",@progbits
; Kernel info:
; codeLenInByte = 3408
; NumSgprs: 38
; NumVgprs: 40
; NumAgprs: 0
; TotalNumVgprs: 40
; ScratchSize: 0
; MemoryBound: 0
; FloatMode: 240
; IeeeMode: 1
; LDSByteSize: 0 bytes/workgroup (compile time only)
; SGPRBlocks: 4
; VGPRBlocks: 4
; NumSGPRsForWavesPerEU: 38
; NumVGPRsForWavesPerEU: 40
; AccumOffset: 40
; Occupancy: 8
; WaveLimiterHint : 1
; COMPUTE_PGM_RSRC2:SCRATCH_EN: 0
; COMPUTE_PGM_RSRC2:USER_SGPR: 2
; COMPUTE_PGM_RSRC2:TRAP_HANDLER: 0
; COMPUTE_PGM_RSRC2:TGID_X_EN: 1
; COMPUTE_PGM_RSRC2:TGID_Y_EN: 0
; COMPUTE_PGM_RSRC2:TGID_Z_EN: 0
; COMPUTE_PGM_RSRC2:TIDIG_COMP_CNT: 0
; COMPUTE_PGM_RSRC3_GFX90A:ACCUM_OFFSET: 9
; COMPUTE_PGM_RSRC3_GFX90A:TG_SPLIT: 0
	.text
	.p2alignl 6, 3212836864
	.fill 256, 4, 3212836864
	.type	__hip_cuid_e8b3958d1a2c0c34,@object ; @__hip_cuid_e8b3958d1a2c0c34
	.section	.bss,"aw",@nobits
	.globl	__hip_cuid_e8b3958d1a2c0c34
__hip_cuid_e8b3958d1a2c0c34:
	.byte	0                               ; 0x0
	.size	__hip_cuid_e8b3958d1a2c0c34, 1

	.ident	"AMD clang version 19.0.0git (https://github.com/RadeonOpenCompute/llvm-project roc-6.4.0 25133 c7fe45cf4b819c5991fe208aaa96edf142730f1d)"
	.section	".note.GNU-stack","",@progbits
	.addrsig
	.addrsig_sym __hip_cuid_e8b3958d1a2c0c34
	.amdgpu_metadata
---
amdhsa.kernels:
  - .agpr_count:     0
    .args:
      - .actual_access:  read_only
        .address_space:  global
        .offset:         0
        .size:           8
        .value_kind:     global_buffer
      - .offset:         8
        .size:           8
        .value_kind:     by_value
      - .actual_access:  read_only
        .address_space:  global
        .offset:         16
        .size:           8
        .value_kind:     global_buffer
      - .actual_access:  read_only
        .address_space:  global
        .offset:         24
        .size:           8
        .value_kind:     global_buffer
      - .actual_access:  read_only
        .address_space:  global
        .offset:         32
        .size:           8
        .value_kind:     global_buffer
      - .offset:         40
        .size:           8
        .value_kind:     by_value
      - .actual_access:  read_only
        .address_space:  global
        .offset:         48
        .size:           8
        .value_kind:     global_buffer
      - .actual_access:  read_only
        .address_space:  global
        .offset:         56
        .size:           8
        .value_kind:     global_buffer
      - .offset:         64
        .size:           4
        .value_kind:     by_value
      - .actual_access:  read_only
        .address_space:  global
        .offset:         72
        .size:           8
        .value_kind:     global_buffer
      - .actual_access:  read_only
        .address_space:  global
        .offset:         80
        .size:           8
        .value_kind:     global_buffer
      - .actual_access:  read_only
        .address_space:  global
        .offset:         88
        .size:           8
        .value_kind:     global_buffer
      - .actual_access:  write_only
        .address_space:  global
        .offset:         96
        .size:           8
        .value_kind:     global_buffer
    .group_segment_fixed_size: 0
    .kernarg_segment_align: 8
    .kernarg_segment_size: 104
    .language:       OpenCL C
    .language_version:
      - 2
      - 0
    .max_flat_workgroup_size: 256
    .name:           fft_rtc_back_len256_factors_4_4_4_4_wgs_256_tpt_32_half_op_CI_CI_sbrc_xy_z_aligned
    .private_segment_fixed_size: 0
    .sgpr_count:     38
    .sgpr_spill_count: 0
    .symbol:         fft_rtc_back_len256_factors_4_4_4_4_wgs_256_tpt_32_half_op_CI_CI_sbrc_xy_z_aligned.kd
    .uniform_work_group_size: 1
    .uses_dynamic_stack: false
    .vgpr_count:     40
    .vgpr_spill_count: 0
    .wavefront_size: 64
amdhsa.target:   amdgcn-amd-amdhsa--gfx950
amdhsa.version:
  - 1
  - 2
...

	.end_amdgpu_metadata
